;; amdgpu-corpus repo=ROCm/rocFFT kind=compiled arch=gfx1030 opt=O3
	.text
	.amdgcn_target "amdgcn-amd-amdhsa--gfx1030"
	.amdhsa_code_object_version 6
	.protected	bluestein_single_back_len1470_dim1_dp_op_CI_CI ; -- Begin function bluestein_single_back_len1470_dim1_dp_op_CI_CI
	.globl	bluestein_single_back_len1470_dim1_dp_op_CI_CI
	.p2align	8
	.type	bluestein_single_back_len1470_dim1_dp_op_CI_CI,@function
bluestein_single_back_len1470_dim1_dp_op_CI_CI: ; @bluestein_single_back_len1470_dim1_dp_op_CI_CI
; %bb.0:
	s_load_dwordx4 s[8:11], s[4:5], 0x28
	v_mul_u32_u24_e32 v1, 0x139, v0
	v_mov_b32_e32 v153, 0
	s_mov_b32 s0, exec_lo
	v_lshrrev_b32_e32 v1, 16, v1
	v_add_nc_u32_e32 v152, s6, v1
	s_waitcnt lgkmcnt(0)
	v_cmpx_gt_u64_e64 s[8:9], v[152:153]
	s_cbranch_execz .LBB0_31
; %bb.1:
	s_clause 0x1
	s_load_dwordx4 s[0:3], s[4:5], 0x18
	s_load_dwordx2 s[6:7], s[4:5], 0x0
	v_mul_lo_u16 v1, 0xd2, v1
	v_sub_nc_u16 v74, v0, v1
	v_and_b32_e32 v156, 0xffff, v74
	v_lshlrev_b32_e32 v153, 4, v156
	s_waitcnt lgkmcnt(0)
	s_load_dwordx4 s[12:15], s[0:1], 0x0
	v_add_co_u32 v154, s0, s6, v153
	v_add_co_ci_u32_e64 v155, null, s7, 0, s0
	global_load_dwordx4 v[0:3], v153, s[6:7]
	v_add_co_u32 v4, vcc_lo, 0x2800, v154
	v_add_co_ci_u32_e32 v5, vcc_lo, 0, v155, vcc_lo
	v_add_co_u32 v8, vcc_lo, 0x800, v154
	v_add_co_ci_u32_e32 v9, vcc_lo, 0, v155, vcc_lo
	v_add_co_u32 v16, vcc_lo, 0x3800, v154
	v_add_co_ci_u32_e32 v17, vcc_lo, 0, v155, vcc_lo
	v_add_co_u32 v18, vcc_lo, 0x1800, v154
	s_waitcnt lgkmcnt(0)
	v_mad_u64_u32 v[12:13], null, s14, v152, 0
	v_mad_u64_u32 v[14:15], null, s12, v156, 0
	v_add_co_ci_u32_e32 v19, vcc_lo, 0, v155, vcc_lo
	s_mul_i32 s1, s13, 0x2df
	s_mul_hi_u32 s6, s12, 0x2df
	v_mov_b32_e32 v6, v13
	s_mul_i32 s0, s12, 0x2df
	v_mov_b32_e32 v10, v15
	s_mul_hi_u32 s7, s12, 0xfffffdf3
	s_add_i32 s1, s6, s1
	v_mad_u64_u32 v[20:21], null, s15, v152, v[6:7]
	v_mad_u64_u32 v[23:24], null, s13, v156, v[10:11]
	v_add_co_u32 v21, vcc_lo, 0x4800, v154
	v_add_co_ci_u32_e32 v22, vcc_lo, 0, v155, vcc_lo
	v_mov_b32_e32 v13, v20
	s_mul_i32 s8, s12, 0xfffffdf3
	v_mov_b32_e32 v15, v23
	s_sub_i32 s12, s7, s12
	s_lshl_b64 s[6:7], s[0:1], 4
	v_lshlrev_b64 v[12:13], 4, v[12:13]
	s_mul_i32 s9, s13, 0xfffffdf3
	v_lshlrev_b64 v[14:15], 4, v[14:15]
	s_add_i32 s9, s12, s9
	s_clause 0x1
	global_load_dwordx4 v[4:7], v[4:5], off offset:1520
	global_load_dwordx4 v[8:11], v[8:9], off offset:1312
	v_add_co_u32 v12, vcc_lo, s10, v12
	v_add_co_ci_u32_e32 v13, vcc_lo, s11, v13, vcc_lo
	s_lshl_b64 s[0:1], s[8:9], 4
	v_add_co_u32 v23, vcc_lo, v12, v14
	v_add_co_ci_u32_e32 v24, vcc_lo, v13, v15, vcc_lo
	global_load_dwordx4 v[12:15], v[16:17], off offset:784
	v_add_co_u32 v30, vcc_lo, v23, s6
	v_add_co_ci_u32_e32 v31, vcc_lo, s7, v24, vcc_lo
	v_add_co_u32 v34, vcc_lo, v30, s0
	v_add_co_ci_u32_e32 v35, vcc_lo, s1, v31, vcc_lo
	s_clause 0x1
	global_load_dwordx4 v[26:29], v[23:24], off
	global_load_dwordx4 v[30:33], v[30:31], off
	v_add_co_u32 v16, vcc_lo, v34, s6
	v_add_co_ci_u32_e32 v17, vcc_lo, s7, v35, vcc_lo
	global_load_dwordx4 v[34:37], v[34:35], off
	v_add_co_u32 v42, vcc_lo, v16, s0
	v_add_co_ci_u32_e32 v43, vcc_lo, s1, v17, vcc_lo
	v_add_co_u32 v24, vcc_lo, v42, s6
	v_add_co_ci_u32_e32 v25, vcc_lo, s7, v43, vcc_lo
	s_clause 0x1
	global_load_dwordx4 v[38:41], v[16:17], off
	global_load_dwordx4 v[42:45], v[42:43], off
	s_clause 0x1
	global_load_dwordx4 v[16:19], v[18:19], off offset:576
	global_load_dwordx4 v[20:23], v[21:22], off offset:48
	global_load_dwordx4 v[46:49], v[24:25], off
	s_load_dwordx2 s[12:13], s[4:5], 0x38
	s_load_dwordx4 s[8:11], s[2:3], 0x0
	v_cmp_gt_u16_e32 vcc_lo, 0x69, v74
	s_waitcnt vmcnt(7)
	v_mul_f64 v[50:51], v[28:29], v[2:3]
	v_mul_f64 v[52:53], v[26:27], v[2:3]
	s_waitcnt vmcnt(6)
	v_mul_f64 v[54:55], v[32:33], v[6:7]
	v_mul_f64 v[56:57], v[30:31], v[6:7]
	;; [unrolled: 3-line block ×6, first 2 shown]
	v_fma_f64 v[26:27], v[26:27], v[0:1], v[50:51]
	v_fma_f64 v[28:29], v[28:29], v[0:1], -v[52:53]
	v_fma_f64 v[30:31], v[30:31], v[4:5], v[54:55]
	v_fma_f64 v[32:33], v[32:33], v[4:5], -v[56:57]
	ds_write_b128 v153, v[26:29]
	ds_write_b128 v153, v[30:33] offset:11760
	v_fma_f64 v[34:35], v[34:35], v[8:9], v[58:59]
	v_fma_f64 v[36:37], v[36:37], v[8:9], -v[60:61]
	v_fma_f64 v[38:39], v[38:39], v[12:13], v[62:63]
	v_fma_f64 v[40:41], v[40:41], v[12:13], -v[64:65]
	;; [unrolled: 2-line block ×4, first 2 shown]
	ds_write_b128 v153, v[34:37] offset:3360
	ds_write_b128 v153, v[38:41] offset:15120
	;; [unrolled: 1-line block ×4, first 2 shown]
	s_and_saveexec_b32 s2, vcc_lo
	s_cbranch_execz .LBB0_3
; %bb.2:
	v_add_co_u32 v24, s0, v24, s0
	v_add_co_ci_u32_e64 v25, s0, s1, v25, s0
	v_add_co_u32 v28, s0, 0x2000, v154
	v_add_co_ci_u32_e64 v29, s0, 0, v155, s0
	;; [unrolled: 2-line block ×4, first 2 shown]
	global_load_dwordx4 v[24:27], v[24:25], off
	s_clause 0x1
	global_load_dwordx4 v[28:31], v[28:29], off offset:1888
	global_load_dwordx4 v[32:35], v[32:33], off offset:1360
	global_load_dwordx4 v[36:39], v[36:37], off
	s_waitcnt vmcnt(2)
	v_mul_f64 v[40:41], v[26:27], v[30:31]
	v_mul_f64 v[30:31], v[24:25], v[30:31]
	s_waitcnt vmcnt(0)
	v_mul_f64 v[42:43], v[38:39], v[34:35]
	v_mul_f64 v[34:35], v[36:37], v[34:35]
	v_fma_f64 v[24:25], v[24:25], v[28:29], v[40:41]
	v_fma_f64 v[26:27], v[26:27], v[28:29], -v[30:31]
	v_fma_f64 v[28:29], v[36:37], v[32:33], v[42:43]
	v_fma_f64 v[30:31], v[38:39], v[32:33], -v[34:35]
	ds_write_b128 v153, v[24:27] offset:10080
	ds_write_b128 v153, v[28:31] offset:21840
.LBB0_3:
	s_or_b32 exec_lo, exec_lo, s2
	s_waitcnt lgkmcnt(0)
	s_barrier
	buffer_gl0_inv
	ds_read_b128 v[24:27], v153
	ds_read_b128 v[28:31], v153 offset:3360
	ds_read_b128 v[52:55], v153 offset:11760
	;; [unrolled: 1-line block ×5, first 2 shown]
                                        ; implicit-def: $vgpr40_vgpr41
                                        ; implicit-def: $vgpr44_vgpr45
	s_and_saveexec_b32 s0, vcc_lo
	s_cbranch_execz .LBB0_5
; %bb.4:
	ds_read_b128 v[40:43], v153 offset:10080
	ds_read_b128 v[44:47], v153 offset:21840
.LBB0_5:
	s_or_b32 exec_lo, exec_lo, s0
	s_waitcnt lgkmcnt(3)
	v_add_f64 v[52:53], v[24:25], -v[52:53]
	v_add_f64 v[54:55], v[26:27], -v[54:55]
	s_waitcnt lgkmcnt(0)
	v_add_f64 v[56:57], v[32:33], -v[36:37]
	v_add_f64 v[58:59], v[34:35], -v[38:39]
	;; [unrolled: 1-line block ×6, first 2 shown]
	s_load_dwordx2 s[2:3], s[4:5], 0x8
	v_add_co_u32 v105, null, 0xd2, v156
	v_add_co_u32 v68, null, 0x1a4, v156
	s_waitcnt lgkmcnt(0)
	v_lshlrev_b32_e32 v160, 5, v105
	s_barrier
	v_lshlrev_b32_e32 v161, 5, v68
	buffer_gl0_inv
	v_fma_f64 v[44:45], v[24:25], 2.0, -v[52:53]
	v_fma_f64 v[46:47], v[26:27], 2.0, -v[54:55]
	v_fma_f64 v[32:33], v[32:33], 2.0, -v[56:57]
	v_fma_f64 v[34:35], v[34:35], 2.0, -v[58:59]
	v_fma_f64 v[24:25], v[40:41], 2.0, -v[36:37]
	v_fma_f64 v[26:27], v[42:43], 2.0, -v[38:39]
	v_fma_f64 v[28:29], v[28:29], 2.0, -v[48:49]
	v_fma_f64 v[30:31], v[30:31], 2.0, -v[50:51]
	v_lshlrev_b16 v40, 1, v156
	v_mov_b32_e32 v41, 4
	v_add_co_u32 v42, null, 0x276, v156
	v_lshlrev_b32_sdwa v159, v41, v40 dst_sel:DWORD dst_unused:UNUSED_PAD src0_sel:DWORD src1_sel:WORD_0
	v_lshlrev_b32_e32 v158, 5, v42
	ds_write_b128 v159, v[52:55] offset:16
	ds_write_b128 v160, v[48:51] offset:16
	ds_write_b128 v159, v[44:47]
	ds_write_b128 v160, v[28:31]
	;; [unrolled: 1-line block ×3, first 2 shown]
	ds_write_b128 v161, v[56:59] offset:16
	s_and_saveexec_b32 s0, vcc_lo
	s_cbranch_execz .LBB0_7
; %bb.6:
	ds_write_b128 v158, v[24:27]
	ds_write_b128 v158, v[36:39] offset:16
.LBB0_7:
	s_or_b32 exec_lo, exec_lo, s0
	s_waitcnt lgkmcnt(0)
	s_barrier
	buffer_gl0_inv
	ds_read_b128 v[32:35], v153
	ds_read_b128 v[28:31], v153 offset:3360
	ds_read_b128 v[56:59], v153 offset:7840
	;; [unrolled: 1-line block ×5, first 2 shown]
	v_cmp_gt_u16_e64 s1, 0x46, v156
                                        ; implicit-def: $vgpr64_vgpr65
	s_and_saveexec_b32 s0, s1
	s_cbranch_execz .LBB0_9
; %bb.8:
	ds_read_b128 v[24:27], v153 offset:6720
	ds_read_b128 v[36:39], v153 offset:14560
	;; [unrolled: 1-line block ×3, first 2 shown]
.LBB0_9:
	s_or_b32 exec_lo, exec_lo, s0
	v_and_b32_e32 v157, 1, v156
	s_mov_b32 s4, 0xe8584caa
	s_mov_b32 s5, 0x3febb67a
	;; [unrolled: 1-line block ×4, first 2 shown]
	v_lshlrev_b32_e32 v40, 5, v157
	v_lshrrev_b32_e32 v110, 1, v105
	v_lshrrev_b32_e32 v162, 1, v68
	s_clause 0x1
	global_load_dwordx4 v[44:47], v40, s[2:3]
	global_load_dwordx4 v[40:43], v40, s[2:3] offset:16
	s_waitcnt vmcnt(0) lgkmcnt(0)
	s_barrier
	buffer_gl0_inv
	v_mul_f64 v[69:70], v[58:59], v[46:47]
	v_mul_f64 v[73:74], v[62:63], v[42:43]
	;; [unrolled: 1-line block ×12, first 2 shown]
	v_fma_f64 v[56:57], v[56:57], v[44:45], -v[69:70]
	v_fma_f64 v[60:61], v[60:61], v[40:41], -v[73:74]
	;; [unrolled: 1-line block ×3, first 2 shown]
	v_fma_f64 v[50:51], v[50:51], v[44:45], v[79:80]
	v_fma_f64 v[52:53], v[52:53], v[40:41], -v[81:82]
	v_fma_f64 v[54:55], v[54:55], v[40:41], v[83:84]
	v_fma_f64 v[36:37], v[36:37], v[44:45], -v[85:86]
	;; [unrolled: 2-line block ×3, first 2 shown]
	v_fma_f64 v[66:67], v[66:67], v[40:41], v[91:92]
	v_fma_f64 v[58:59], v[58:59], v[44:45], v[71:72]
	;; [unrolled: 1-line block ×3, first 2 shown]
	v_add_f64 v[81:82], v[32:33], v[56:57]
	v_add_f64 v[69:70], v[56:57], v[60:61]
	v_add_f64 v[56:57], v[56:57], -v[60:61]
	v_add_f64 v[87:88], v[30:31], v[50:51]
	v_add_f64 v[73:74], v[48:49], v[52:53]
	;; [unrolled: 1-line block ×7, first 2 shown]
	v_add_f64 v[50:51], v[50:51], -v[54:55]
	v_add_f64 v[71:72], v[58:59], v[62:63]
	v_add_f64 v[83:84], v[58:59], -v[62:63]
	v_add_f64 v[58:59], v[34:35], v[58:59]
	v_add_f64 v[95:96], v[48:49], -v[52:53]
	v_add_f64 v[99:100], v[38:39], -v[66:67]
	;; [unrolled: 1-line block ×3, first 2 shown]
	v_add_f64 v[85:86], v[28:29], v[48:49]
	v_fma_f64 v[69:70], v[69:70], -0.5, v[32:33]
	v_fma_f64 v[97:98], v[73:74], -0.5, v[28:29]
	;; [unrolled: 1-line block ×3, first 2 shown]
	v_add_f64 v[30:31], v[87:88], v[54:55]
	v_add_f64 v[74:75], v[91:92], v[66:67]
	v_fma_f64 v[106:107], v[77:78], -0.5, v[24:25]
	v_fma_f64 v[108:109], v[79:80], -0.5, v[26:27]
	v_add_f64 v[24:25], v[81:82], v[60:61]
	v_fma_f64 v[93:94], v[71:72], -0.5, v[34:35]
	v_add_f64 v[72:73], v[89:90], v[64:65]
	v_add_f64 v[26:27], v[58:59], v[62:63]
	v_lshrrev_b32_e32 v71, 1, v156
	v_add_f64 v[28:29], v[85:86], v[52:53]
	v_mul_u32_u24_e32 v53, 6, v110
	v_mul_u32_u24_e32 v52, 6, v71
	v_or_b32_e32 v53, v53, v157
	v_fma_f64 v[32:33], v[83:84], s[4:5], v[69:70]
	v_fma_f64 v[36:37], v[83:84], s[6:7], v[69:70]
	;; [unrolled: 1-line block ×12, first 2 shown]
	v_or_b32_e32 v52, v52, v157
	v_lshlrev_b32_e32 v163, 4, v53
	v_lshlrev_b32_e32 v164, 4, v52
	ds_write_b128 v164, v[24:27]
	ds_write_b128 v164, v[32:35] offset:32
	ds_write_b128 v164, v[36:39] offset:64
	ds_write_b128 v163, v[28:31]
	ds_write_b128 v163, v[48:51] offset:32
	ds_write_b128 v163, v[64:67] offset:64
	s_and_saveexec_b32 s0, s1
	s_cbranch_execz .LBB0_11
; %bb.10:
	v_mul_u32_u24_e32 v24, 6, v162
	v_or_b32_e32 v24, v24, v157
	v_lshlrev_b32_e32 v24, 4, v24
	ds_write_b128 v24, v[72:75]
	ds_write_b128 v24, v[76:79] offset:32
	ds_write_b128 v24, v[80:83] offset:64
.LBB0_11:
	s_or_b32 exec_lo, exec_lo, s0
	s_waitcnt lgkmcnt(0)
	s_barrier
	buffer_gl0_inv
	ds_read_b128 v[68:71], v153
	ds_read_b128 v[84:87], v153 offset:4704
	ds_read_b128 v[96:99], v153 offset:9408
	;; [unrolled: 1-line block ×4, first 2 shown]
	v_cmp_gt_u16_e64 s0, 0x54, v156
                                        ; implicit-def: $vgpr100_vgpr101
	s_and_saveexec_b32 s4, s0
	s_cbranch_execz .LBB0_13
; %bb.12:
	ds_read_b128 v[64:67], v153 offset:3360
	ds_read_b128 v[72:75], v153 offset:8064
	;; [unrolled: 1-line block ×5, first 2 shown]
.LBB0_13:
	s_or_b32 exec_lo, exec_lo, s4
	v_and_b32_e32 v104, 0xff, v156
	v_mov_b32_e32 v24, 0xaaab
	s_mov_b32 s15, 0xbfee6f0e
	s_mov_b32 s6, 0x4755a5e
	;; [unrolled: 1-line block ×3, first 2 shown]
	v_mul_lo_u16 v25, 0xab, v104
	v_mul_u32_u24_sdwa v24, v105, v24 dst_sel:DWORD dst_unused:UNUSED_PAD src0_sel:WORD_0 src1_sel:DWORD
	s_mov_b32 s17, 0xbfe2cf23
	s_mov_b32 s16, s6
	v_lshrrev_b16 v151, 10, v25
	v_lshrrev_b32_e32 v191, 18, v24
	v_mul_lo_u16 v24, v151, 6
	v_mul_lo_u16 v25, v191, 6
	v_sub_nc_u16 v24, v156, v24
	v_sub_nc_u16 v192, v105, v25
	v_and_b32_e32 v193, 0xff, v24
	v_lshlrev_b16 v24, 6, v192
	v_lshlrev_b32_e32 v25, 6, v193
	v_and_b32_e32 v24, 0xffff, v24
	s_clause 0x3
	global_load_dwordx4 v[48:51], v25, s[2:3] offset:80
	global_load_dwordx4 v[60:63], v25, s[2:3] offset:64
	;; [unrolled: 1-line block ×4, first 2 shown]
	v_add_co_u32 v32, s4, s2, v24
	v_add_co_ci_u32_e64 v33, null, s3, 0, s4
	s_mov_b32 s4, 0x134454ff
	s_mov_b32 s5, 0x3fee6f0e
	s_clause 0x3
	global_load_dwordx4 v[24:27], v[32:33], off offset:64
	global_load_dwordx4 v[28:31], v[32:33], off offset:112
	;; [unrolled: 1-line block ×4, first 2 shown]
	s_mov_b32 s14, s4
	s_waitcnt vmcnt(0) lgkmcnt(0)
	s_barrier
	buffer_gl0_inv
	v_mul_f64 v[105:106], v[98:99], v[50:51]
	v_mul_f64 v[107:108], v[96:97], v[50:51]
	;; [unrolled: 1-line block ×16, first 2 shown]
	v_fma_f64 v[105:106], v[96:97], v[48:49], -v[105:106]
	v_fma_f64 v[107:108], v[98:99], v[48:49], v[107:108]
	v_fma_f64 v[109:110], v[92:93], v[56:57], -v[109:110]
	v_fma_f64 v[111:112], v[94:95], v[56:57], v[111:112]
	;; [unrolled: 2-line block ×8, first 2 shown]
	v_add_f64 v[100:101], v[105:106], v[109:110]
	v_add_f64 v[102:103], v[107:108], v[111:112]
	;; [unrolled: 1-line block ×3, first 2 shown]
	v_add_f64 v[121:122], v[96:97], -v[105:106]
	v_add_f64 v[113:114], v[96:97], v[88:89]
	v_add_f64 v[115:116], v[98:99], v[90:91]
	v_add_f64 v[119:120], v[98:99], -v[90:91]
	v_add_f64 v[123:124], v[88:89], -v[109:110]
	v_add_f64 v[129:130], v[86:87], v[72:73]
	v_add_f64 v[131:132], v[94:95], v[74:75]
	v_add_f64 v[125:126], v[105:106], -v[96:97]
	v_add_f64 v[127:128], v[109:110], -v[88:89]
	v_add_f64 v[137:138], v[84:85], v[76:77]
	v_add_f64 v[139:140], v[92:93], v[78:79]
	;; [unrolled: 1-line block ×3, first 2 shown]
	v_add_f64 v[135:136], v[96:97], -v[88:89]
	v_add_f64 v[141:142], v[98:99], -v[107:108]
	;; [unrolled: 1-line block ×7, first 2 shown]
	v_fma_f64 v[100:101], v[100:101], -0.5, v[68:69]
	v_fma_f64 v[102:103], v[102:103], -0.5, v[70:71]
	v_add_f64 v[96:97], v[94:95], -v[74:75]
	v_add_f64 v[98:99], v[86:87], -v[72:73]
	v_fma_f64 v[113:114], v[113:114], -0.5, v[68:69]
	v_fma_f64 v[115:116], v[115:116], -0.5, v[70:71]
	v_add_f64 v[143:144], v[90:91], -v[111:112]
	v_add_f64 v[165:166], v[111:112], -v[90:91]
	;; [unrolled: 4-line block ×4, first 2 shown]
	v_add_f64 v[137:138], v[86:87], -v[84:85]
	v_add_f64 v[139:140], v[72:73], -v[76:77]
	;; [unrolled: 1-line block ×4, first 2 shown]
	v_add_f64 v[105:106], v[117:118], v[105:106]
	v_add_f64 v[107:108], v[133:134], v[107:108]
	;; [unrolled: 1-line block ×4, first 2 shown]
	v_fma_f64 v[123:124], v[119:120], s[4:5], v[100:101]
	v_fma_f64 v[125:126], v[135:136], s[14:15], v[102:103]
	;; [unrolled: 1-line block ×14, first 2 shown]
	v_add_f64 v[141:142], v[141:142], v[143:144]
	v_add_f64 v[143:144], v[149:150], v[165:166]
	;; [unrolled: 1-line block ×8, first 2 shown]
	v_fma_f64 v[109:110], v[145:146], s[6:7], v[123:124]
	v_fma_f64 v[111:112], v[147:148], s[16:17], v[125:126]
	;; [unrolled: 1-line block ×14, first 2 shown]
	s_mov_b32 s14, 0x372fe950
	s_mov_b32 s15, 0x3fd3c6ef
	v_add_f64 v[105:106], v[105:106], v[88:89]
	v_add_f64 v[107:108], v[107:108], v[90:91]
	v_fma_f64 v[109:110], v[117:118], s[14:15], v[109:110]
	v_fma_f64 v[111:112], v[141:142], s[14:15], v[111:112]
	;; [unrolled: 1-line block ×14, first 2 shown]
	v_mov_b32_e32 v113, 30
	v_mad_u16 v165, v191, 30, v192
	v_mul_u32_u24_sdwa v113, v151, v113 dst_sel:DWORD dst_unused:UNUSED_PAD src0_sel:WORD_0 src1_sel:DWORD
	v_add_lshl_u32 v166, v113, v193, 4
	ds_write_b128 v166, v[105:108]
	ds_write_b128 v166, v[109:112] offset:96
	ds_write_b128 v166, v[128:131] offset:192
	;; [unrolled: 1-line block ×4, first 2 shown]
	s_and_saveexec_b32 s16, s0
	s_cbranch_execz .LBB0_15
; %bb.14:
	v_mul_f64 v[98:99], v[98:99], s[4:5]
	v_add_f64 v[66:67], v[66:67], v[94:95]
	v_add_f64 v[64:65], v[64:65], v[86:87]
	v_mul_f64 v[86:87], v[96:97], s[4:5]
	v_mul_f64 v[82:83], v[82:83], s[6:7]
	;; [unrolled: 1-line block ×3, first 2 shown]
	v_add_f64 v[70:71], v[70:71], -v[98:99]
	v_add_f64 v[66:67], v[66:67], v[92:93]
	v_add_f64 v[64:65], v[64:65], v[84:85]
	;; [unrolled: 1-line block ×3, first 2 shown]
	v_mul_f64 v[86:87], v[102:103], s[14:15]
	v_mul_f64 v[84:85], v[100:101], s[14:15]
	v_add_f64 v[70:71], v[70:71], -v[82:83]
	v_add_f64 v[78:79], v[66:67], v[78:79]
	v_add_f64 v[64:65], v[64:65], v[76:77]
	;; [unrolled: 1-line block ×7, first 2 shown]
	v_mov_b32_e32 v72, 4
	v_lshlrev_b32_sdwa v72, v72, v165 dst_sel:DWORD dst_unused:UNUSED_PAD src0_sel:DWORD src1_sel:WORD_0
	ds_write_b128 v72, v[120:123] offset:192
	ds_write_b128 v72, v[116:119] offset:288
	ds_write_b128 v72, v[68:71]
	ds_write_b128 v72, v[64:67] offset:96
	ds_write_b128 v72, v[88:91] offset:384
.LBB0_15:
	s_or_b32 exec_lo, exec_lo, s16
	v_mul_lo_u16 v64, 0x89, v104
	s_waitcnt lgkmcnt(0)
	s_barrier
	buffer_gl0_inv
	s_mov_b32 s14, 0x37e14327
	v_lshrrev_b16 v92, 12, v64
	s_mov_b32 s20, 0xe976ee23
	s_mov_b32 s15, 0x3fe948f6
	;; [unrolled: 1-line block ×4, first 2 shown]
	v_mul_lo_u16 v64, v92, 30
	s_mov_b32 s6, 0x36b3c0b5
	s_mov_b32 s17, 0x3febfeb5
	s_mov_b32 s7, 0x3fac98ee
	s_mov_b32 s18, 0xaaaaaaaa
	v_sub_nc_u16 v64, v156, v64
	s_mov_b32 s26, 0xb247c609
	s_mov_b32 s19, 0xbff2aaaa
	;; [unrolled: 1-line block ×4, first 2 shown]
	v_and_b32_e32 v93, 0xff, v64
	s_mov_b32 s23, 0x3fe77f67
	s_mov_b32 s25, 0xbfe77f67
	;; [unrolled: 1-line block ×4, first 2 shown]
	v_mad_u64_u32 v[76:77], null, 0x60, v93, s[2:3]
	s_mov_b32 s28, s26
	s_mov_b32 s30, 0x37c3f68c
	;; [unrolled: 1-line block ×3, first 2 shown]
	v_mov_b32_e32 v151, 0xd2
	s_clause 0x5
	global_load_dwordx4 v[68:71], v[76:77], off offset:448
	global_load_dwordx4 v[64:67], v[76:77], off offset:464
	;; [unrolled: 1-line block ×6, first 2 shown]
	ds_read_b128 v[94:97], v153 offset:3360
	ds_read_b128 v[98:101], v153 offset:6720
	;; [unrolled: 1-line block ×6, first 2 shown]
	v_mul_u32_u24_sdwa v92, v92, v151 dst_sel:DWORD dst_unused:UNUSED_PAD src0_sel:WORD_0 src1_sel:DWORD
	v_add_lshl_u32 v167, v92, v93, 4
	s_waitcnt vmcnt(5) lgkmcnt(5)
	v_mul_f64 v[114:115], v[96:97], v[70:71]
	v_mul_f64 v[128:129], v[94:95], v[70:71]
	s_waitcnt vmcnt(4) lgkmcnt(4)
	v_mul_f64 v[130:131], v[100:101], v[66:67]
	v_mul_f64 v[132:133], v[98:99], v[66:67]
	;; [unrolled: 3-line block ×6, first 2 shown]
	v_fma_f64 v[94:95], v[94:95], v[68:69], -v[114:115]
	v_fma_f64 v[96:97], v[96:97], v[68:69], v[128:129]
	v_fma_f64 v[98:99], v[98:99], v[64:65], -v[130:131]
	v_fma_f64 v[100:101], v[100:101], v[64:65], v[132:133]
	;; [unrolled: 2-line block ×6, first 2 shown]
	v_add_f64 v[126:127], v[94:95], v[102:103]
	v_add_f64 v[128:129], v[96:97], v[104:105]
	;; [unrolled: 1-line block ×4, first 2 shown]
	v_add_f64 v[98:99], v[98:99], -v[106:107]
	v_add_f64 v[100:101], v[100:101], -v[108:109]
	v_add_f64 v[106:107], v[110:111], v[114:115]
	v_add_f64 v[108:109], v[112:113], v[124:125]
	v_add_f64 v[110:111], v[114:115], -v[110:111]
	v_add_f64 v[112:113], v[124:125], -v[112:113]
	;; [unrolled: 1-line block ×4, first 2 shown]
	ds_read_b128 v[94:97], v153
	s_waitcnt lgkmcnt(0)
	s_barrier
	buffer_gl0_inv
	v_add_f64 v[114:115], v[130:131], v[126:127]
	v_add_f64 v[124:125], v[132:133], v[128:129]
	v_add_f64 v[134:135], v[126:127], -v[106:107]
	v_add_f64 v[136:137], v[128:129], -v[108:109]
	;; [unrolled: 1-line block ×6, first 2 shown]
	v_add_f64 v[98:99], v[110:111], v[98:99]
	v_add_f64 v[100:101], v[112:113], v[100:101]
	v_add_f64 v[110:111], v[102:103], -v[110:111]
	v_add_f64 v[112:113], v[104:105], -v[112:113]
	;; [unrolled: 1-line block ×4, first 2 shown]
	v_add_f64 v[114:115], v[106:107], v[114:115]
	v_add_f64 v[124:125], v[108:109], v[124:125]
	v_add_f64 v[106:107], v[106:107], -v[130:131]
	v_add_f64 v[108:109], v[108:109], -v[132:133]
	v_mul_f64 v[134:135], v[134:135], s[14:15]
	v_mul_f64 v[136:137], v[136:137], s[14:15]
	;; [unrolled: 1-line block ×6, first 2 shown]
	v_add_f64 v[98:99], v[98:99], v[102:103]
	v_add_f64 v[100:101], v[100:101], v[104:105]
	;; [unrolled: 1-line block ×4, first 2 shown]
	v_mul_f64 v[130:131], v[106:107], s[6:7]
	v_mul_f64 v[132:133], v[108:109], s[6:7]
	v_fma_f64 v[102:103], v[106:107], s[6:7], v[134:135]
	v_fma_f64 v[104:105], v[108:109], s[6:7], v[136:137]
	v_fma_f64 v[106:107], v[110:111], s[26:27], v[138:139]
	v_fma_f64 v[108:109], v[112:113], s[26:27], v[140:141]
	v_fma_f64 v[110:111], v[110:111], s[28:29], -v[146:147]
	v_fma_f64 v[112:113], v[112:113], s[28:29], -v[148:149]
	;; [unrolled: 1-line block ×6, first 2 shown]
	v_fma_f64 v[114:115], v[114:115], s[18:19], v[94:95]
	v_fma_f64 v[124:125], v[124:125], s[18:19], v[96:97]
	v_fma_f64 v[126:127], v[126:127], s[22:23], -v[130:131]
	v_fma_f64 v[128:129], v[128:129], s[22:23], -v[132:133]
	v_fma_f64 v[130:131], v[98:99], s[30:31], v[106:107]
	v_fma_f64 v[132:133], v[100:101], s[30:31], v[108:109]
	v_fma_f64 v[142:143], v[98:99], s[30:31], v[110:111]
	v_fma_f64 v[144:145], v[100:101], s[30:31], v[112:113]
	v_fma_f64 v[138:139], v[98:99], s[30:31], v[138:139]
	v_fma_f64 v[140:141], v[100:101], s[30:31], v[140:141]
	v_add_f64 v[146:147], v[102:103], v[114:115]
	v_add_f64 v[148:149], v[104:105], v[124:125]
	;; [unrolled: 1-line block ×6, first 2 shown]
	v_mad_u64_u32 v[114:115], null, 0x60, v156, s[2:3]
	v_add_co_u32 v150, s2, 0xd00, v114
	v_add_co_ci_u32_e64 v151, s2, 0, v115, s2
	v_add_f64 v[98:99], v[132:133], v[146:147]
	v_add_f64 v[100:101], v[148:149], -v[130:131]
	v_add_f64 v[102:103], v[144:145], v[134:135]
	v_add_f64 v[104:105], v[136:137], -v[142:143]
	v_add_f64 v[106:107], v[110:111], -v[140:141]
	v_add_f64 v[108:109], v[138:139], v[112:113]
	v_add_f64 v[110:111], v[140:141], v[110:111]
	v_add_f64 v[112:113], v[112:113], -v[138:139]
	v_add_f64 v[124:125], v[134:135], -v[144:145]
	v_add_f64 v[126:127], v[142:143], v[136:137]
	v_add_f64 v[128:129], v[146:147], -v[132:133]
	v_add_f64 v[130:131], v[130:131], v[148:149]
	v_add_co_u32 v132, s3, 0x800, v114
	v_add_co_u32 v114, s4, 0xd40, v114
	v_add_co_ci_u32_e64 v133, s2, 0, v115, s3
	v_add_co_ci_u32_e64 v115, s2, 0, v115, s4
	ds_write_b128 v167, v[94:97]
	ds_write_b128 v167, v[98:101] offset:480
	ds_write_b128 v167, v[102:105] offset:960
	;; [unrolled: 1-line block ×6, first 2 shown]
	s_waitcnt lgkmcnt(0)
	s_barrier
	buffer_gl0_inv
	s_clause 0x5
	global_load_dwordx4 v[96:99], v[132:133], off offset:1280
	global_load_dwordx4 v[92:95], v[150:151], off offset:16
	;; [unrolled: 1-line block ×6, first 2 shown]
	ds_read_b128 v[124:127], v153 offset:3360
	ds_read_b128 v[128:131], v153 offset:6720
	;; [unrolled: 1-line block ×6, first 2 shown]
	s_waitcnt vmcnt(5) lgkmcnt(5)
	v_mul_f64 v[148:149], v[126:127], v[98:99]
	v_mul_f64 v[150:151], v[124:125], v[98:99]
	s_waitcnt vmcnt(4) lgkmcnt(4)
	v_mul_f64 v[168:169], v[130:131], v[94:95]
	v_mul_f64 v[170:171], v[128:129], v[94:95]
	s_waitcnt vmcnt(3) lgkmcnt(3)
	v_mul_f64 v[172:173], v[134:135], v[114:115]
	v_mul_f64 v[174:175], v[132:133], v[114:115]
	s_waitcnt vmcnt(2) lgkmcnt(2)
	v_mul_f64 v[176:177], v[138:139], v[110:111]
	v_mul_f64 v[178:179], v[136:137], v[110:111]
	s_waitcnt vmcnt(1) lgkmcnt(1)
	v_mul_f64 v[180:181], v[142:143], v[106:107]
	v_mul_f64 v[182:183], v[140:141], v[106:107]
	s_waitcnt vmcnt(0) lgkmcnt(0)
	v_mul_f64 v[184:185], v[146:147], v[102:103]
	v_mul_f64 v[186:187], v[144:145], v[102:103]
	v_fma_f64 v[124:125], v[124:125], v[96:97], -v[148:149]
	v_fma_f64 v[126:127], v[126:127], v[96:97], v[150:151]
	v_fma_f64 v[128:129], v[128:129], v[92:93], -v[168:169]
	v_fma_f64 v[130:131], v[130:131], v[92:93], v[170:171]
	;; [unrolled: 2-line block ×6, first 2 shown]
	v_add_f64 v[148:149], v[124:125], v[132:133]
	v_add_f64 v[150:151], v[126:127], v[134:135]
	;; [unrolled: 1-line block ×4, first 2 shown]
	v_add_f64 v[128:129], v[128:129], -v[136:137]
	v_add_f64 v[130:131], v[130:131], -v[138:139]
	v_add_f64 v[136:137], v[140:141], v[144:145]
	v_add_f64 v[138:139], v[142:143], v[146:147]
	v_add_f64 v[140:141], v[144:145], -v[140:141]
	v_add_f64 v[142:143], v[146:147], -v[142:143]
	;; [unrolled: 1-line block ×4, first 2 shown]
	v_add_f64 v[124:125], v[168:169], v[148:149]
	v_add_f64 v[126:127], v[170:171], v[150:151]
	v_add_f64 v[144:145], v[148:149], -v[136:137]
	v_add_f64 v[146:147], v[150:151], -v[138:139]
	;; [unrolled: 1-line block ×6, first 2 shown]
	v_add_f64 v[184:185], v[140:141], v[128:129]
	v_add_f64 v[186:187], v[142:143], v[130:131]
	v_add_f64 v[140:141], v[132:133], -v[140:141]
	v_add_f64 v[142:143], v[134:135], -v[142:143]
	v_add_f64 v[180:181], v[136:137], v[124:125]
	v_add_f64 v[182:183], v[138:139], v[126:127]
	ds_read_b128 v[124:127], v153
	v_add_f64 v[136:137], v[136:137], -v[168:169]
	v_add_f64 v[138:139], v[138:139], -v[170:171]
	v_mul_f64 v[144:145], v[144:145], s[14:15]
	v_mul_f64 v[146:147], v[146:147], s[14:15]
	;; [unrolled: 1-line block ×6, first 2 shown]
	v_add_f64 v[132:133], v[184:185], v[132:133]
	v_add_f64 v[134:135], v[186:187], v[134:135]
	s_waitcnt lgkmcnt(0)
	v_add_f64 v[128:129], v[124:125], v[180:181]
	v_add_f64 v[130:131], v[126:127], v[182:183]
	v_add_f64 v[124:125], v[168:169], -v[148:149]
	v_add_f64 v[126:127], v[170:171], -v[150:151]
	v_mul_f64 v[148:149], v[136:137], s[6:7]
	v_mul_f64 v[150:151], v[138:139], s[6:7]
	v_fma_f64 v[136:137], v[136:137], s[6:7], v[144:145]
	v_fma_f64 v[138:139], v[138:139], s[6:7], v[146:147]
	;; [unrolled: 1-line block ×4, first 2 shown]
	v_fma_f64 v[172:173], v[176:177], s[16:17], -v[172:173]
	v_fma_f64 v[174:175], v[178:179], s[16:17], -v[174:175]
	;; [unrolled: 1-line block ×4, first 2 shown]
	v_fma_f64 v[176:177], v[180:181], s[18:19], v[128:129]
	v_fma_f64 v[178:179], v[182:183], s[18:19], v[130:131]
	v_fma_f64 v[144:145], v[124:125], s[24:25], -v[144:145]
	v_fma_f64 v[146:147], v[126:127], s[24:25], -v[146:147]
	;; [unrolled: 1-line block ×4, first 2 shown]
	v_fma_f64 v[168:169], v[132:133], s[30:31], v[168:169]
	v_fma_f64 v[170:171], v[134:135], s[30:31], v[170:171]
	;; [unrolled: 1-line block ×6, first 2 shown]
	v_add_f64 v[180:181], v[136:137], v[176:177]
	v_add_f64 v[182:183], v[138:139], v[178:179]
	;; [unrolled: 1-line block ×6, first 2 shown]
	v_add_co_u32 v176, s2, 0x5800, v154
	v_add_co_u32 v178, s3, 0x8800, v154
	v_add_co_ci_u32_e64 v177, s2, 0, v155, s2
	v_add_co_ci_u32_e64 v179, s2, 0, v155, s3
	v_add_f64 v[132:133], v[170:171], v[180:181]
	v_add_f64 v[134:135], v[182:183], -v[168:169]
	v_add_f64 v[136:137], v[174:175], v[184:185]
	v_add_f64 v[138:139], v[186:187], -v[172:173]
	v_add_f64 v[140:141], v[124:125], -v[150:151]
	v_add_f64 v[142:143], v[148:149], v[126:127]
	v_add_f64 v[144:145], v[150:151], v[124:125]
	v_add_f64 v[146:147], v[126:127], -v[148:149]
	v_add_f64 v[148:149], v[184:185], -v[174:175]
	v_add_f64 v[150:151], v[172:173], v[186:187]
	v_add_f64 v[124:125], v[180:181], -v[170:171]
	v_add_f64 v[126:127], v[168:169], v[182:183]
	v_add_co_u32 v168, s4, 0x6800, v154
	v_add_co_u32 v170, s5, 0x9000, v154
	v_add_co_ci_u32_e64 v169, s2, 0, v155, s4
	v_add_co_u32 v172, s6, 0x7000, v154
	v_add_co_u32 v174, s7, 0xa000, v154
	v_add_co_ci_u32_e64 v171, s2, 0, v155, s5
	ds_write_b128 v153, v[128:131]
	ds_write_b128 v153, v[132:135] offset:3360
	ds_write_b128 v153, v[136:139] offset:6720
	;; [unrolled: 1-line block ×6, first 2 shown]
	s_waitcnt lgkmcnt(0)
	s_barrier
	buffer_gl0_inv
	global_load_dwordx4 v[128:131], v[176:177], off offset:992
	v_add_co_ci_u32_e64 v173, s2, 0, v155, s6
	s_clause 0x1
	global_load_dwordx4 v[132:135], v[178:179], off offset:464
	global_load_dwordx4 v[136:139], v[168:169], off offset:256
	v_add_co_ci_u32_e64 v175, s2, 0, v155, s7
	s_clause 0x2
	global_load_dwordx4 v[140:143], v[170:171], off offset:1776
	global_load_dwordx4 v[144:147], v[172:173], off offset:1568
	;; [unrolled: 1-line block ×3, first 2 shown]
	ds_read_b128 v[168:171], v153
	ds_read_b128 v[172:175], v153 offset:11760
	ds_read_b128 v[176:179], v153 offset:3360
	;; [unrolled: 1-line block ×5, first 2 shown]
	s_waitcnt vmcnt(5) lgkmcnt(5)
	v_mul_f64 v[192:193], v[170:171], v[130:131]
	v_mul_f64 v[130:131], v[168:169], v[130:131]
	s_waitcnt vmcnt(4) lgkmcnt(4)
	v_mul_f64 v[194:195], v[174:175], v[134:135]
	v_mul_f64 v[134:135], v[172:173], v[134:135]
	;; [unrolled: 3-line block ×6, first 2 shown]
	v_fma_f64 v[168:169], v[168:169], v[128:129], -v[192:193]
	v_fma_f64 v[170:171], v[170:171], v[128:129], v[130:131]
	v_fma_f64 v[128:129], v[172:173], v[132:133], -v[194:195]
	v_fma_f64 v[130:131], v[174:175], v[132:133], v[134:135]
	;; [unrolled: 2-line block ×6, first 2 shown]
	ds_write_b128 v153, v[168:171]
	ds_write_b128 v153, v[128:131] offset:11760
	ds_write_b128 v153, v[132:135] offset:3360
	;; [unrolled: 1-line block ×5, first 2 shown]
	s_and_saveexec_b32 s3, vcc_lo
	s_cbranch_execz .LBB0_17
; %bb.16:
	v_add_co_u32 v130, s2, 0x5be0, v154
	v_add_co_ci_u32_e64 v131, s2, 0, v155, s2
	v_add_co_u32 v128, s2, 0x2000, v130
	v_add_co_ci_u32_e64 v129, s2, 0, v131, s2
	;; [unrolled: 2-line block ×3, first 2 shown]
	s_clause 0x1
	global_load_dwordx4 v[128:131], v[128:129], off offset:1888
	global_load_dwordx4 v[132:135], v[132:133], off offset:1360
	ds_read_b128 v[136:139], v153 offset:10080
	ds_read_b128 v[140:143], v153 offset:21840
	s_waitcnt vmcnt(1) lgkmcnt(1)
	v_mul_f64 v[144:145], v[138:139], v[130:131]
	v_mul_f64 v[130:131], v[136:137], v[130:131]
	s_waitcnt vmcnt(0) lgkmcnt(0)
	v_mul_f64 v[146:147], v[142:143], v[134:135]
	v_mul_f64 v[148:149], v[140:141], v[134:135]
	v_fma_f64 v[134:135], v[136:137], v[128:129], -v[144:145]
	v_fma_f64 v[136:137], v[138:139], v[128:129], v[130:131]
	v_fma_f64 v[128:129], v[140:141], v[132:133], -v[146:147]
	v_fma_f64 v[130:131], v[142:143], v[132:133], v[148:149]
	ds_write_b128 v153, v[134:137] offset:10080
	ds_write_b128 v153, v[128:131] offset:21840
.LBB0_17:
	s_or_b32 exec_lo, exec_lo, s3
	s_waitcnt lgkmcnt(0)
	s_barrier
	buffer_gl0_inv
	ds_read_b128 v[128:131], v153
	ds_read_b128 v[136:139], v153 offset:3360
	ds_read_b128 v[148:151], v153 offset:11760
	;; [unrolled: 1-line block ×5, first 2 shown]
	s_and_saveexec_b32 s2, vcc_lo
	s_cbranch_execz .LBB0_19
; %bb.18:
	ds_read_b128 v[124:127], v153 offset:10080
	ds_read_b128 v[120:123], v153 offset:21840
.LBB0_19:
	s_or_b32 exec_lo, exec_lo, s2
	s_waitcnt lgkmcnt(0)
	v_add_f64 v[168:169], v[140:141], -v[132:133]
	v_add_f64 v[170:171], v[142:143], -v[134:135]
	v_add_f64 v[132:133], v[124:125], -v[120:121]
	v_add_f64 v[134:135], v[126:127], -v[122:123]
	v_add_f64 v[148:149], v[128:129], -v[148:149]
	v_add_f64 v[150:151], v[130:131], -v[150:151]
	v_add_f64 v[144:145], v[136:137], -v[144:145]
	v_add_f64 v[146:147], v[138:139], -v[146:147]
	s_barrier
	buffer_gl0_inv
	v_fma_f64 v[140:141], v[140:141], 2.0, -v[168:169]
	v_fma_f64 v[142:143], v[142:143], 2.0, -v[170:171]
	;; [unrolled: 1-line block ×8, first 2 shown]
	ds_write_b128 v159, v[148:151] offset:16
	ds_write_b128 v160, v[144:147] offset:16
	ds_write_b128 v159, v[128:131]
	ds_write_b128 v160, v[136:139]
	;; [unrolled: 1-line block ×3, first 2 shown]
	ds_write_b128 v161, v[168:171] offset:16
	s_and_saveexec_b32 s2, vcc_lo
	s_cbranch_execz .LBB0_21
; %bb.20:
	ds_write_b128 v158, v[120:123]
	ds_write_b128 v158, v[132:135] offset:16
.LBB0_21:
	s_or_b32 exec_lo, exec_lo, s2
	s_waitcnt lgkmcnt(0)
	s_barrier
	buffer_gl0_inv
	ds_read_b128 v[128:131], v153
	ds_read_b128 v[124:127], v153 offset:3360
	ds_read_b128 v[144:147], v153 offset:7840
	;; [unrolled: 1-line block ×5, first 2 shown]
	s_and_saveexec_b32 s2, s1
	s_cbranch_execz .LBB0_23
; %bb.22:
	ds_read_b128 v[120:123], v153 offset:6720
	ds_read_b128 v[132:135], v153 offset:14560
	;; [unrolled: 1-line block ×3, first 2 shown]
.LBB0_23:
	s_or_b32 exec_lo, exec_lo, s2
	s_waitcnt lgkmcnt(3)
	v_mul_f64 v[158:159], v[46:47], v[146:147]
	s_waitcnt lgkmcnt(1)
	v_mul_f64 v[160:161], v[42:43], v[150:151]
	v_mul_f64 v[168:169], v[46:47], v[144:145]
	;; [unrolled: 1-line block ×4, first 2 shown]
	s_waitcnt lgkmcnt(0)
	v_mul_f64 v[174:175], v[42:43], v[142:143]
	v_mul_f64 v[176:177], v[46:47], v[136:137]
	;; [unrolled: 1-line block ×7, first 2 shown]
	s_mov_b32 s2, 0xe8584caa
	s_mov_b32 s3, 0xbfebb67a
	s_mov_b32 s5, 0x3febb67a
	s_mov_b32 s4, s2
	s_barrier
	buffer_gl0_inv
	v_fma_f64 v[144:145], v[44:45], v[144:145], v[158:159]
	v_fma_f64 v[148:149], v[40:41], v[148:149], v[160:161]
	v_fma_f64 v[146:147], v[44:45], v[146:147], -v[168:169]
	v_fma_f64 v[150:151], v[40:41], v[150:151], -v[170:171]
	v_fma_f64 v[136:137], v[44:45], v[136:137], v[172:173]
	v_fma_f64 v[140:141], v[40:41], v[140:141], v[174:175]
	v_fma_f64 v[138:139], v[44:45], v[138:139], -v[176:177]
	v_fma_f64 v[142:143], v[40:41], v[142:143], -v[178:179]
	;; [unrolled: 4-line block ×3, first 2 shown]
	v_add_f64 v[168:169], v[128:129], v[144:145]
	v_add_f64 v[42:43], v[144:145], v[148:149]
	v_add_f64 v[144:145], v[144:145], -v[148:149]
	v_add_f64 v[46:47], v[146:147], v[150:151]
	v_add_f64 v[170:171], v[146:147], -v[150:151]
	v_add_f64 v[118:119], v[136:137], v[140:141]
	v_add_f64 v[146:147], v[130:131], v[146:147]
	;; [unrolled: 1-line block ×8, first 2 shown]
	v_add_f64 v[182:183], v[138:139], -v[142:143]
	v_add_f64 v[184:185], v[136:137], -v[140:141]
	;; [unrolled: 1-line block ×3, first 2 shown]
	v_add_f64 v[174:175], v[126:127], v[138:139]
	v_fma_f64 v[42:43], v[42:43], -0.5, v[128:129]
	v_fma_f64 v[180:181], v[46:47], -0.5, v[130:131]
	;; [unrolled: 1-line block ×3, first 2 shown]
	v_add_f64 v[124:125], v[168:169], v[148:149]
	v_fma_f64 v[186:187], v[134:135], -0.5, v[126:127]
	v_add_f64 v[126:127], v[146:147], v[150:151]
	v_fma_f64 v[120:121], v[158:159], -0.5, v[120:121]
	v_add_f64 v[158:159], v[132:133], -v[116:117]
	v_fma_f64 v[122:123], v[160:161], -0.5, v[122:123]
	v_add_f64 v[128:129], v[172:173], v[140:141]
	v_add_f64 v[44:45], v[176:177], v[116:117]
	;; [unrolled: 1-line block ×4, first 2 shown]
	v_fma_f64 v[132:133], v[170:171], s[2:3], v[42:43]
	v_fma_f64 v[136:137], v[170:171], s[4:5], v[42:43]
	;; [unrolled: 1-line block ×12, first 2 shown]
	ds_write_b128 v164, v[124:127]
	ds_write_b128 v164, v[132:135] offset:32
	ds_write_b128 v164, v[136:139] offset:64
	ds_write_b128 v163, v[128:131]
	ds_write_b128 v163, v[140:143] offset:32
	ds_write_b128 v163, v[40:43] offset:64
	s_and_saveexec_b32 s2, s1
	s_cbranch_execz .LBB0_25
; %bb.24:
	v_mul_u32_u24_e32 v124, 6, v162
	v_or_b32_e32 v124, v124, v157
	v_lshlrev_b32_e32 v124, 4, v124
	ds_write_b128 v124, v[44:47]
	ds_write_b128 v124, v[116:119] offset:32
	ds_write_b128 v124, v[120:123] offset:64
.LBB0_25:
	s_or_b32 exec_lo, exec_lo, s2
	s_waitcnt lgkmcnt(0)
	s_barrier
	buffer_gl0_inv
	ds_read_b128 v[124:127], v153
	ds_read_b128 v[140:143], v153 offset:4704
	ds_read_b128 v[128:131], v153 offset:9408
	;; [unrolled: 1-line block ×4, first 2 shown]
	s_and_saveexec_b32 s1, s0
	s_cbranch_execz .LBB0_27
; %bb.26:
	ds_read_b128 v[40:43], v153 offset:3360
	ds_read_b128 v[44:47], v153 offset:8064
	;; [unrolled: 1-line block ×5, first 2 shown]
.LBB0_27:
	s_or_b32 exec_lo, exec_lo, s1
	s_waitcnt lgkmcnt(3)
	v_mul_f64 v[144:145], v[62:63], v[142:143]
	s_waitcnt lgkmcnt(2)
	v_mul_f64 v[146:147], v[50:51], v[130:131]
	;; [unrolled: 2-line block ×3, first 2 shown]
	v_mul_f64 v[62:63], v[62:63], v[140:141]
	s_waitcnt lgkmcnt(0)
	v_mul_f64 v[150:151], v[54:55], v[138:139]
	v_mul_f64 v[50:51], v[50:51], v[128:129]
	;; [unrolled: 1-line block ×4, first 2 shown]
	s_mov_b32 s2, 0x134454ff
	s_mov_b32 s3, 0xbfee6f0e
	;; [unrolled: 1-line block ×10, first 2 shown]
	s_barrier
	buffer_gl0_inv
	v_fma_f64 v[140:141], v[60:61], v[140:141], v[144:145]
	v_fma_f64 v[128:129], v[48:49], v[128:129], v[146:147]
	;; [unrolled: 1-line block ×3, first 2 shown]
	v_fma_f64 v[60:61], v[60:61], v[142:143], -v[62:63]
	v_fma_f64 v[62:63], v[52:53], v[136:137], v[150:151]
	v_fma_f64 v[48:49], v[48:49], v[130:131], -v[50:51]
	v_fma_f64 v[50:51], v[56:57], v[134:135], -v[58:59]
	v_fma_f64 v[52:53], v[52:53], v[138:139], -v[54:55]
	v_add_f64 v[134:135], v[124:125], v[140:141]
	v_add_f64 v[54:55], v[128:129], v[132:133]
	;; [unrolled: 1-line block ×4, first 2 shown]
	v_add_f64 v[144:145], v[140:141], -v[62:63]
	v_add_f64 v[58:59], v[48:49], v[50:51]
	v_add_f64 v[130:131], v[60:61], v[52:53]
	v_add_f64 v[136:137], v[60:61], -v[52:53]
	v_add_f64 v[138:139], v[48:49], -v[50:51]
	;; [unrolled: 1-line block ×8, first 2 shown]
	v_fma_f64 v[54:55], v[54:55], -0.5, v[124:125]
	v_add_f64 v[48:49], v[142:143], v[48:49]
	v_fma_f64 v[56:57], v[56:57], -0.5, v[124:125]
	v_add_f64 v[124:125], v[128:129], -v[132:133]
	v_fma_f64 v[58:59], v[58:59], -0.5, v[126:127]
	v_fma_f64 v[126:127], v[130:131], -0.5, v[126:127]
	v_add_f64 v[130:131], v[140:141], -v[128:129]
	v_add_f64 v[140:141], v[128:129], -v[140:141]
	v_add_f64 v[128:129], v[134:135], v[128:129]
	v_fma_f64 v[134:135], v[136:137], s[2:3], v[54:55]
	v_fma_f64 v[54:55], v[136:137], s[4:5], v[54:55]
	;; [unrolled: 1-line block ×8, first 2 shown]
	v_add_f64 v[140:141], v[140:141], v[148:149]
	v_add_f64 v[148:149], v[60:61], v[159:160]
	;; [unrolled: 1-line block ×6, first 2 shown]
	v_fma_f64 v[128:129], v[138:139], s[14:15], v[134:135]
	v_fma_f64 v[54:55], v[138:139], s[6:7], v[54:55]
	;; [unrolled: 1-line block ×8, first 2 shown]
	v_add_f64 v[48:49], v[60:61], v[62:63]
	v_add_f64 v[50:51], v[50:51], v[52:53]
	v_fma_f64 v[52:53], v[130:131], s[16:17], v[128:129]
	v_fma_f64 v[56:57], v[130:131], s[16:17], v[54:55]
	;; [unrolled: 1-line block ×8, first 2 shown]
	ds_write_b128 v166, v[48:51]
	ds_write_b128 v166, v[52:55] offset:96
	ds_write_b128 v166, v[60:63] offset:192
	;; [unrolled: 1-line block ×4, first 2 shown]
	s_and_saveexec_b32 s1, s0
	s_cbranch_execz .LBB0_29
; %bb.28:
	v_mul_f64 v[48:49], v[38:39], v[116:117]
	v_mul_f64 v[50:51], v[26:27], v[44:45]
	;; [unrolled: 1-line block ×8, first 2 shown]
	v_fma_f64 v[48:49], v[36:37], v[118:119], -v[48:49]
	v_fma_f64 v[46:47], v[24:25], v[46:47], -v[50:51]
	;; [unrolled: 1-line block ×4, first 2 shown]
	v_fma_f64 v[36:37], v[36:37], v[116:117], v[38:39]
	v_fma_f64 v[32:33], v[32:33], v[120:121], v[34:35]
	;; [unrolled: 1-line block ×4, first 2 shown]
	v_add_f64 v[56:57], v[42:43], v[46:47]
	v_add_f64 v[26:27], v[46:47], v[50:51]
	;; [unrolled: 1-line block ×3, first 2 shown]
	v_add_f64 v[60:61], v[46:47], -v[50:51]
	v_add_f64 v[34:35], v[36:37], v[32:33]
	v_add_f64 v[58:59], v[40:41], v[24:25]
	;; [unrolled: 1-line block ×3, first 2 shown]
	v_add_f64 v[44:45], v[36:37], -v[32:33]
	v_add_f64 v[54:55], v[24:25], -v[28:29]
	;; [unrolled: 1-line block ×8, first 2 shown]
	v_fma_f64 v[26:27], v[26:27], -0.5, v[42:43]
	v_fma_f64 v[30:31], v[30:31], -0.5, v[42:43]
	v_add_f64 v[42:43], v[48:49], -v[52:53]
	v_fma_f64 v[34:35], v[34:35], -0.5, v[40:41]
	v_add_f64 v[36:37], v[58:59], v[36:37]
	v_fma_f64 v[38:39], v[38:39], -0.5, v[40:41]
	v_add_f64 v[40:41], v[48:49], -v[46:47]
	v_add_f64 v[46:47], v[46:47], -v[48:49]
	v_add_f64 v[48:49], v[56:57], v[48:49]
	v_fma_f64 v[56:57], v[44:45], s[4:5], v[26:27]
	v_fma_f64 v[26:27], v[44:45], s[2:3], v[26:27]
	;; [unrolled: 1-line block ×8, first 2 shown]
	v_add_f64 v[46:47], v[46:47], v[88:89]
	v_add_f64 v[88:89], v[24:25], v[118:119]
	;; [unrolled: 1-line block ×6, first 2 shown]
	v_fma_f64 v[36:37], v[54:55], s[14:15], v[56:57]
	v_fma_f64 v[48:49], v[54:55], s[6:7], v[26:27]
	;; [unrolled: 1-line block ×8, first 2 shown]
	v_add_f64 v[26:27], v[24:25], v[50:51]
	v_add_f64 v[24:25], v[32:33], v[28:29]
	v_fma_f64 v[30:31], v[40:41], s[16:17], v[36:37]
	v_fma_f64 v[34:35], v[40:41], s[16:17], v[48:49]
	;; [unrolled: 1-line block ×8, first 2 shown]
	v_mov_b32_e32 v44, 4
	v_lshlrev_b32_sdwa v44, v44, v165 dst_sel:DWORD dst_unused:UNUSED_PAD src0_sel:DWORD src1_sel:WORD_0
	ds_write_b128 v44, v[24:27]
	ds_write_b128 v44, v[40:43] offset:96
	ds_write_b128 v44, v[32:35] offset:192
	;; [unrolled: 1-line block ×4, first 2 shown]
.LBB0_29:
	s_or_b32 exec_lo, exec_lo, s1
	s_waitcnt lgkmcnt(0)
	s_barrier
	buffer_gl0_inv
	ds_read_b128 v[24:27], v153 offset:3360
	ds_read_b128 v[28:31], v153 offset:6720
	;; [unrolled: 1-line block ×6, first 2 shown]
	s_mov_b32 s2, 0x37e14327
	s_mov_b32 s14, 0xe976ee23
	;; [unrolled: 1-line block ×14, first 2 shown]
	s_waitcnt lgkmcnt(5)
	v_mul_f64 v[48:49], v[70:71], v[26:27]
	v_mul_f64 v[50:51], v[70:71], v[24:25]
	s_waitcnt lgkmcnt(4)
	v_mul_f64 v[52:53], v[66:67], v[30:31]
	v_mul_f64 v[54:55], v[66:67], v[28:29]
	;; [unrolled: 3-line block ×6, first 2 shown]
	s_mov_b32 s19, 0xbfe77f67
	s_mov_b32 s23, 0x3fd5d0dc
	;; [unrolled: 1-line block ×6, first 2 shown]
	v_fma_f64 v[24:25], v[68:69], v[24:25], v[48:49]
	v_fma_f64 v[26:27], v[68:69], v[26:27], -v[50:51]
	v_fma_f64 v[28:29], v[64:65], v[28:29], v[52:53]
	v_fma_f64 v[30:31], v[64:65], v[30:31], -v[54:55]
	;; [unrolled: 2-line block ×6, first 2 shown]
	v_add_f64 v[48:49], v[24:25], v[32:33]
	v_add_f64 v[50:51], v[26:27], v[34:35]
	;; [unrolled: 1-line block ×4, first 2 shown]
	v_add_f64 v[28:29], v[28:29], -v[36:37]
	v_add_f64 v[30:31], v[30:31], -v[38:39]
	v_add_f64 v[36:37], v[40:41], v[44:45]
	v_add_f64 v[38:39], v[42:43], v[46:47]
	v_add_f64 v[40:41], v[44:45], -v[40:41]
	v_add_f64 v[42:43], v[46:47], -v[42:43]
	;; [unrolled: 1-line block ×4, first 2 shown]
	ds_read_b128 v[24:27], v153
	s_waitcnt lgkmcnt(0)
	s_barrier
	buffer_gl0_inv
	v_add_f64 v[44:45], v[52:53], v[48:49]
	v_add_f64 v[46:47], v[54:55], v[50:51]
	v_add_f64 v[56:57], v[48:49], -v[36:37]
	v_add_f64 v[58:59], v[50:51], -v[38:39]
	;; [unrolled: 1-line block ×6, first 2 shown]
	v_add_f64 v[28:29], v[40:41], v[28:29]
	v_add_f64 v[30:31], v[42:43], v[30:31]
	v_add_f64 v[40:41], v[32:33], -v[40:41]
	v_add_f64 v[42:43], v[34:35], -v[42:43]
	;; [unrolled: 1-line block ×4, first 2 shown]
	v_add_f64 v[44:45], v[36:37], v[44:45]
	v_add_f64 v[46:47], v[38:39], v[46:47]
	v_add_f64 v[36:37], v[36:37], -v[52:53]
	v_add_f64 v[38:39], v[38:39], -v[54:55]
	v_mul_f64 v[56:57], v[56:57], s[2:3]
	v_mul_f64 v[58:59], v[58:59], s[2:3]
	;; [unrolled: 1-line block ×6, first 2 shown]
	v_add_f64 v[28:29], v[28:29], v[32:33]
	v_add_f64 v[30:31], v[30:31], v[34:35]
	;; [unrolled: 1-line block ×4, first 2 shown]
	v_mul_f64 v[52:53], v[36:37], s[0:1]
	v_mul_f64 v[54:55], v[38:39], s[0:1]
	v_fma_f64 v[32:33], v[36:37], s[0:1], v[56:57]
	v_fma_f64 v[34:35], v[38:39], s[0:1], v[58:59]
	v_fma_f64 v[36:37], v[40:41], s[20:21], v[60:61]
	v_fma_f64 v[38:39], v[42:43], s[20:21], v[62:63]
	v_fma_f64 v[40:41], v[40:41], s[22:23], -v[68:69]
	v_fma_f64 v[42:43], v[42:43], s[22:23], -v[70:71]
	;; [unrolled: 1-line block ×6, first 2 shown]
	v_fma_f64 v[44:45], v[44:45], s[6:7], v[24:25]
	v_fma_f64 v[46:47], v[46:47], s[6:7], v[26:27]
	v_fma_f64 v[48:49], v[48:49], s[16:17], -v[52:53]
	v_fma_f64 v[50:51], v[50:51], s[16:17], -v[54:55]
	v_fma_f64 v[52:53], v[28:29], s[24:25], v[36:37]
	v_fma_f64 v[54:55], v[30:31], s[24:25], v[38:39]
	;; [unrolled: 1-line block ×6, first 2 shown]
	v_add_f64 v[68:69], v[32:33], v[44:45]
	v_add_f64 v[70:71], v[34:35], v[46:47]
	;; [unrolled: 1-line block ×7, first 2 shown]
	v_add_f64 v[30:31], v[70:71], -v[52:53]
	v_add_f64 v[32:33], v[66:67], v[56:57]
	v_add_f64 v[34:35], v[58:59], -v[64:65]
	v_add_f64 v[36:37], v[40:41], -v[62:63]
	v_add_f64 v[38:39], v[60:61], v[42:43]
	v_add_f64 v[40:41], v[62:63], v[40:41]
	v_add_f64 v[42:43], v[42:43], -v[60:61]
	v_add_f64 v[44:45], v[56:57], -v[66:67]
	v_add_f64 v[46:47], v[64:65], v[58:59]
	v_add_f64 v[48:49], v[68:69], -v[54:55]
	v_add_f64 v[50:51], v[52:53], v[70:71]
	ds_write_b128 v167, v[24:27]
	ds_write_b128 v167, v[28:31] offset:480
	ds_write_b128 v167, v[32:35] offset:960
	;; [unrolled: 1-line block ×6, first 2 shown]
	s_waitcnt lgkmcnt(0)
	s_barrier
	buffer_gl0_inv
	ds_read_b128 v[24:27], v153 offset:3360
	ds_read_b128 v[28:31], v153 offset:6720
	;; [unrolled: 1-line block ×6, first 2 shown]
	s_waitcnt lgkmcnt(5)
	v_mul_f64 v[48:49], v[98:99], v[26:27]
	v_mul_f64 v[50:51], v[98:99], v[24:25]
	s_waitcnt lgkmcnt(4)
	v_mul_f64 v[52:53], v[94:95], v[30:31]
	v_mul_f64 v[54:55], v[94:95], v[28:29]
	;; [unrolled: 3-line block ×6, first 2 shown]
	v_fma_f64 v[24:25], v[96:97], v[24:25], v[48:49]
	v_fma_f64 v[26:27], v[96:97], v[26:27], -v[50:51]
	v_fma_f64 v[28:29], v[92:93], v[28:29], v[52:53]
	v_fma_f64 v[30:31], v[92:93], v[30:31], -v[54:55]
	;; [unrolled: 2-line block ×6, first 2 shown]
	v_add_f64 v[48:49], v[24:25], v[32:33]
	v_add_f64 v[50:51], v[26:27], v[34:35]
	;; [unrolled: 1-line block ×4, first 2 shown]
	v_add_f64 v[28:29], v[28:29], -v[36:37]
	v_add_f64 v[30:31], v[30:31], -v[38:39]
	v_add_f64 v[36:37], v[40:41], v[44:45]
	v_add_f64 v[38:39], v[42:43], v[46:47]
	v_add_f64 v[40:41], v[44:45], -v[40:41]
	v_add_f64 v[42:43], v[46:47], -v[42:43]
	;; [unrolled: 1-line block ×4, first 2 shown]
	v_add_f64 v[24:25], v[52:53], v[48:49]
	v_add_f64 v[26:27], v[54:55], v[50:51]
	v_add_f64 v[44:45], v[48:49], -v[36:37]
	v_add_f64 v[46:47], v[50:51], -v[38:39]
	;; [unrolled: 1-line block ×6, first 2 shown]
	v_add_f64 v[28:29], v[40:41], v[28:29]
	v_add_f64 v[30:31], v[42:43], v[30:31]
	v_add_f64 v[40:41], v[32:33], -v[40:41]
	v_add_f64 v[42:43], v[34:35], -v[42:43]
	;; [unrolled: 1-line block ×4, first 2 shown]
	v_add_f64 v[64:65], v[36:37], v[24:25]
	v_add_f64 v[66:67], v[38:39], v[26:27]
	ds_read_b128 v[24:27], v153
	v_add_f64 v[36:37], v[36:37], -v[52:53]
	v_add_f64 v[38:39], v[38:39], -v[54:55]
	v_mul_f64 v[44:45], v[44:45], s[2:3]
	v_mul_f64 v[46:47], v[46:47], s[2:3]
	;; [unrolled: 1-line block ×6, first 2 shown]
	v_add_f64 v[28:29], v[28:29], v[32:33]
	v_add_f64 v[30:31], v[30:31], v[34:35]
	s_mov_b32 s2, 0x3adcd25f
	s_mov_b32 s3, 0x3f464a89
	s_waitcnt lgkmcnt(0)
	v_add_f64 v[24:25], v[24:25], v[64:65]
	v_add_f64 v[26:27], v[26:27], v[66:67]
	v_mul_f64 v[52:53], v[36:37], s[0:1]
	v_mul_f64 v[54:55], v[38:39], s[0:1]
	v_fma_f64 v[32:33], v[36:37], s[0:1], v[44:45]
	v_fma_f64 v[34:35], v[38:39], s[0:1], v[46:47]
	;; [unrolled: 1-line block ×4, first 2 shown]
	v_fma_f64 v[56:57], v[60:61], s[4:5], -v[56:57]
	v_fma_f64 v[58:59], v[62:63], s[4:5], -v[58:59]
	;; [unrolled: 1-line block ×6, first 2 shown]
	s_mul_i32 s1, s9, 0x2df
	s_mul_hi_u32 s4, s8, 0x2df
	s_mul_i32 s0, s8, 0x2df
	s_mul_hi_u32 s5, s8, 0xfffffdf3
	s_add_i32 s1, s4, s1
	v_fma_f64 v[60:61], v[64:65], s[6:7], v[24:25]
	v_fma_f64 v[62:63], v[66:67], s[6:7], v[26:27]
	s_mul_i32 s6, s8, 0xfffffdf3
	v_fma_f64 v[48:49], v[48:49], s[16:17], -v[52:53]
	v_fma_f64 v[50:51], v[50:51], s[16:17], -v[54:55]
	s_mul_i32 s7, s9, 0xfffffdf3
	v_fma_f64 v[52:53], v[28:29], s[24:25], v[36:37]
	v_fma_f64 v[54:55], v[30:31], s[24:25], v[38:39]
	;; [unrolled: 1-line block ×6, first 2 shown]
	v_add_f64 v[68:69], v[32:33], v[60:61]
	v_add_f64 v[70:71], v[34:35], v[62:63]
	;; [unrolled: 1-line block ×7, first 2 shown]
	v_add_f64 v[30:31], v[70:71], -v[52:53]
	v_add_f64 v[32:33], v[66:67], v[44:45]
	v_add_f64 v[34:35], v[46:47], -v[64:65]
	v_add_f64 v[36:37], v[40:41], -v[58:59]
	v_add_f64 v[38:39], v[56:57], v[42:43]
	v_add_f64 v[40:41], v[58:59], v[40:41]
	v_add_f64 v[42:43], v[42:43], -v[56:57]
	v_add_f64 v[44:45], v[44:45], -v[66:67]
	v_add_f64 v[46:47], v[64:65], v[46:47]
	v_add_f64 v[48:49], v[68:69], -v[54:55]
	v_add_f64 v[50:51], v[52:53], v[70:71]
	v_mad_u64_u32 v[52:53], null, s10, v152, 0
	ds_write_b128 v153, v[24:27]
	ds_write_b128 v153, v[28:31] offset:3360
	ds_write_b128 v153, v[32:35] offset:6720
	;; [unrolled: 1-line block ×6, first 2 shown]
	s_waitcnt lgkmcnt(0)
	s_barrier
	buffer_gl0_inv
	ds_read_b128 v[24:27], v153
	ds_read_b128 v[32:35], v153 offset:3360
	ds_read_b128 v[28:31], v153 offset:11760
	;; [unrolled: 1-line block ×5, first 2 shown]
	v_mov_b32_e32 v50, v53
	v_mad_u64_u32 v[48:49], null, s8, v156, 0
	s_sub_i32 s8, s5, s8
	s_lshl_b64 s[4:5], s[0:1], 4
	v_mad_u64_u32 v[50:51], null, s11, v152, v[50:51]
	s_add_i32 s7, s8, s7
	s_lshl_b64 s[6:7], s[6:7], 4
	v_mad_u64_u32 v[54:55], null, s9, v156, v[49:50]
	v_mov_b32_e32 v53, v50
	s_waitcnt lgkmcnt(5)
	v_mul_f64 v[50:51], v[2:3], v[26:27]
	v_mul_f64 v[2:3], v[2:3], v[24:25]
	s_waitcnt lgkmcnt(3)
	v_mul_f64 v[55:56], v[6:7], v[30:31]
	v_mul_f64 v[6:7], v[6:7], v[28:29]
	;; [unrolled: 1-line block ×4, first 2 shown]
	s_waitcnt lgkmcnt(2)
	v_mul_f64 v[59:60], v[14:15], v[38:39]
	v_mul_f64 v[14:15], v[14:15], v[36:37]
	s_waitcnt lgkmcnt(1)
	v_mul_f64 v[61:62], v[18:19], v[42:43]
	v_mul_f64 v[18:19], v[18:19], v[40:41]
	s_waitcnt lgkmcnt(0)
	v_mul_f64 v[63:64], v[22:23], v[46:47]
	v_mul_f64 v[22:23], v[22:23], v[44:45]
	v_mov_b32_e32 v49, v54
	v_lshlrev_b64 v[52:53], 4, v[52:53]
	v_lshlrev_b64 v[48:49], 4, v[48:49]
	v_add_co_u32 v52, s0, s12, v52
	v_add_co_ci_u32_e64 v53, s0, s13, v53, s0
	v_fma_f64 v[24:25], v[0:1], v[24:25], v[50:51]
	v_fma_f64 v[0:1], v[0:1], v[26:27], -v[2:3]
	v_fma_f64 v[26:27], v[4:5], v[28:29], v[55:56]
	v_fma_f64 v[28:29], v[4:5], v[30:31], -v[6:7]
	;; [unrolled: 2-line block ×6, first 2 shown]
	v_add_co_u32 v46, s0, v52, v48
	v_add_co_ci_u32_e64 v47, s0, v53, v49, s0
	v_add_co_u32 v48, s0, v46, s4
	v_add_co_ci_u32_e64 v49, s0, s5, v47, s0
	v_mul_f64 v[2:3], v[24:25], s[2:3]
	v_mul_f64 v[4:5], v[0:1], s[2:3]
	;; [unrolled: 1-line block ×3, first 2 shown]
	v_add_co_u32 v26, s0, v48, s6
	v_mul_f64 v[8:9], v[28:29], s[2:3]
	v_mul_f64 v[10:11], v[30:31], s[2:3]
	;; [unrolled: 1-line block ×3, first 2 shown]
	v_add_co_ci_u32_e64 v27, s0, s7, v49, s0
	v_mul_f64 v[14:15], v[34:35], s[2:3]
	v_mul_f64 v[16:17], v[36:37], s[2:3]
	;; [unrolled: 1-line block ×6, first 2 shown]
	v_add_co_u32 v28, s0, v26, s4
	v_add_co_ci_u32_e64 v29, s0, s5, v27, s0
	v_add_co_u32 v30, s0, v28, s6
	v_add_co_ci_u32_e64 v31, s0, s7, v29, s0
	;; [unrolled: 2-line block ×3, first 2 shown]
	global_store_dwordx4 v[46:47], v[2:5], off
	global_store_dwordx4 v[48:49], v[6:9], off
	;; [unrolled: 1-line block ×6, first 2 shown]
	s_and_b32 exec_lo, exec_lo, vcc_lo
	s_cbranch_execz .LBB0_31
; %bb.30:
	v_add_co_u32 v2, vcc_lo, 0x2000, v154
	v_add_co_ci_u32_e32 v3, vcc_lo, 0, v155, vcc_lo
	v_add_co_u32 v6, vcc_lo, 0x5000, v154
	v_add_co_ci_u32_e32 v7, vcc_lo, 0, v155, vcc_lo
	v_add_co_u32 v0, vcc_lo, v0, s6
	s_clause 0x1
	global_load_dwordx4 v[2:5], v[2:3], off offset:1888
	global_load_dwordx4 v[6:9], v[6:7], off offset:1360
	ds_read_b128 v[10:13], v153 offset:10080
	ds_read_b128 v[14:17], v153 offset:21840
	v_add_co_ci_u32_e32 v1, vcc_lo, s7, v1, vcc_lo
	s_waitcnt vmcnt(1) lgkmcnt(1)
	v_mul_f64 v[18:19], v[12:13], v[4:5]
	v_mul_f64 v[4:5], v[10:11], v[4:5]
	s_waitcnt vmcnt(0) lgkmcnt(0)
	v_mul_f64 v[20:21], v[16:17], v[8:9]
	v_mul_f64 v[8:9], v[14:15], v[8:9]
	v_fma_f64 v[10:11], v[10:11], v[2:3], v[18:19]
	v_fma_f64 v[4:5], v[2:3], v[12:13], -v[4:5]
	v_fma_f64 v[12:13], v[14:15], v[6:7], v[20:21]
	v_fma_f64 v[8:9], v[6:7], v[16:17], -v[8:9]
	v_mul_f64 v[2:3], v[10:11], s[2:3]
	v_mul_f64 v[4:5], v[4:5], s[2:3]
	;; [unrolled: 1-line block ×4, first 2 shown]
	v_add_co_u32 v10, vcc_lo, v0, s4
	v_add_co_ci_u32_e32 v11, vcc_lo, s5, v1, vcc_lo
	global_store_dwordx4 v[0:1], v[2:5], off
	global_store_dwordx4 v[10:11], v[6:9], off
.LBB0_31:
	s_endpgm
	.section	.rodata,"a",@progbits
	.p2align	6, 0x0
	.amdhsa_kernel bluestein_single_back_len1470_dim1_dp_op_CI_CI
		.amdhsa_group_segment_fixed_size 23520
		.amdhsa_private_segment_fixed_size 0
		.amdhsa_kernarg_size 104
		.amdhsa_user_sgpr_count 6
		.amdhsa_user_sgpr_private_segment_buffer 1
		.amdhsa_user_sgpr_dispatch_ptr 0
		.amdhsa_user_sgpr_queue_ptr 0
		.amdhsa_user_sgpr_kernarg_segment_ptr 1
		.amdhsa_user_sgpr_dispatch_id 0
		.amdhsa_user_sgpr_flat_scratch_init 0
		.amdhsa_user_sgpr_private_segment_size 0
		.amdhsa_wavefront_size32 1
		.amdhsa_uses_dynamic_stack 0
		.amdhsa_system_sgpr_private_segment_wavefront_offset 0
		.amdhsa_system_sgpr_workgroup_id_x 1
		.amdhsa_system_sgpr_workgroup_id_y 0
		.amdhsa_system_sgpr_workgroup_id_z 0
		.amdhsa_system_sgpr_workgroup_info 0
		.amdhsa_system_vgpr_workitem_id 0
		.amdhsa_next_free_vgpr 204
		.amdhsa_next_free_sgpr 32
		.amdhsa_reserve_vcc 1
		.amdhsa_reserve_flat_scratch 0
		.amdhsa_float_round_mode_32 0
		.amdhsa_float_round_mode_16_64 0
		.amdhsa_float_denorm_mode_32 3
		.amdhsa_float_denorm_mode_16_64 3
		.amdhsa_dx10_clamp 1
		.amdhsa_ieee_mode 1
		.amdhsa_fp16_overflow 0
		.amdhsa_workgroup_processor_mode 1
		.amdhsa_memory_ordered 1
		.amdhsa_forward_progress 0
		.amdhsa_shared_vgpr_count 0
		.amdhsa_exception_fp_ieee_invalid_op 0
		.amdhsa_exception_fp_denorm_src 0
		.amdhsa_exception_fp_ieee_div_zero 0
		.amdhsa_exception_fp_ieee_overflow 0
		.amdhsa_exception_fp_ieee_underflow 0
		.amdhsa_exception_fp_ieee_inexact 0
		.amdhsa_exception_int_div_zero 0
	.end_amdhsa_kernel
	.text
.Lfunc_end0:
	.size	bluestein_single_back_len1470_dim1_dp_op_CI_CI, .Lfunc_end0-bluestein_single_back_len1470_dim1_dp_op_CI_CI
                                        ; -- End function
	.section	.AMDGPU.csdata,"",@progbits
; Kernel info:
; codeLenInByte = 12700
; NumSgprs: 34
; NumVgprs: 204
; ScratchSize: 0
; MemoryBound: 0
; FloatMode: 240
; IeeeMode: 1
; LDSByteSize: 23520 bytes/workgroup (compile time only)
; SGPRBlocks: 4
; VGPRBlocks: 25
; NumSGPRsForWavesPerEU: 34
; NumVGPRsForWavesPerEU: 204
; Occupancy: 4
; WaveLimiterHint : 1
; COMPUTE_PGM_RSRC2:SCRATCH_EN: 0
; COMPUTE_PGM_RSRC2:USER_SGPR: 6
; COMPUTE_PGM_RSRC2:TRAP_HANDLER: 0
; COMPUTE_PGM_RSRC2:TGID_X_EN: 1
; COMPUTE_PGM_RSRC2:TGID_Y_EN: 0
; COMPUTE_PGM_RSRC2:TGID_Z_EN: 0
; COMPUTE_PGM_RSRC2:TIDIG_COMP_CNT: 0
	.text
	.p2alignl 6, 3214868480
	.fill 48, 4, 3214868480
	.type	__hip_cuid_329b19efdc481f3d,@object ; @__hip_cuid_329b19efdc481f3d
	.section	.bss,"aw",@nobits
	.globl	__hip_cuid_329b19efdc481f3d
__hip_cuid_329b19efdc481f3d:
	.byte	0                               ; 0x0
	.size	__hip_cuid_329b19efdc481f3d, 1

	.ident	"AMD clang version 19.0.0git (https://github.com/RadeonOpenCompute/llvm-project roc-6.4.0 25133 c7fe45cf4b819c5991fe208aaa96edf142730f1d)"
	.section	".note.GNU-stack","",@progbits
	.addrsig
	.addrsig_sym __hip_cuid_329b19efdc481f3d
	.amdgpu_metadata
---
amdhsa.kernels:
  - .args:
      - .actual_access:  read_only
        .address_space:  global
        .offset:         0
        .size:           8
        .value_kind:     global_buffer
      - .actual_access:  read_only
        .address_space:  global
        .offset:         8
        .size:           8
        .value_kind:     global_buffer
      - .actual_access:  read_only
        .address_space:  global
        .offset:         16
        .size:           8
        .value_kind:     global_buffer
      - .actual_access:  read_only
        .address_space:  global
        .offset:         24
        .size:           8
        .value_kind:     global_buffer
      - .actual_access:  read_only
        .address_space:  global
        .offset:         32
        .size:           8
        .value_kind:     global_buffer
      - .offset:         40
        .size:           8
        .value_kind:     by_value
      - .address_space:  global
        .offset:         48
        .size:           8
        .value_kind:     global_buffer
      - .address_space:  global
        .offset:         56
        .size:           8
        .value_kind:     global_buffer
      - .address_space:  global
        .offset:         64
        .size:           8
        .value_kind:     global_buffer
      - .address_space:  global
        .offset:         72
        .size:           8
        .value_kind:     global_buffer
      - .offset:         80
        .size:           4
        .value_kind:     by_value
      - .address_space:  global
        .offset:         88
        .size:           8
        .value_kind:     global_buffer
      - .address_space:  global
        .offset:         96
        .size:           8
        .value_kind:     global_buffer
    .group_segment_fixed_size: 23520
    .kernarg_segment_align: 8
    .kernarg_segment_size: 104
    .language:       OpenCL C
    .language_version:
      - 2
      - 0
    .max_flat_workgroup_size: 210
    .name:           bluestein_single_back_len1470_dim1_dp_op_CI_CI
    .private_segment_fixed_size: 0
    .sgpr_count:     34
    .sgpr_spill_count: 0
    .symbol:         bluestein_single_back_len1470_dim1_dp_op_CI_CI.kd
    .uniform_work_group_size: 1
    .uses_dynamic_stack: false
    .vgpr_count:     204
    .vgpr_spill_count: 0
    .wavefront_size: 32
    .workgroup_processor_mode: 1
amdhsa.target:   amdgcn-amd-amdhsa--gfx1030
amdhsa.version:
  - 1
  - 2
...

	.end_amdgpu_metadata
